;; amdgpu-corpus repo=ROCm/rocFFT kind=compiled arch=gfx1201 opt=O3
	.text
	.amdgcn_target "amdgcn-amd-amdhsa--gfx1201"
	.amdhsa_code_object_version 6
	.protected	fft_rtc_back_len1350_factors_5_10_3_3_3_wgs_135_tpt_135_halfLds_dp_op_CI_CI_unitstride_sbrr_dirReg ; -- Begin function fft_rtc_back_len1350_factors_5_10_3_3_3_wgs_135_tpt_135_halfLds_dp_op_CI_CI_unitstride_sbrr_dirReg
	.globl	fft_rtc_back_len1350_factors_5_10_3_3_3_wgs_135_tpt_135_halfLds_dp_op_CI_CI_unitstride_sbrr_dirReg
	.p2align	8
	.type	fft_rtc_back_len1350_factors_5_10_3_3_3_wgs_135_tpt_135_halfLds_dp_op_CI_CI_unitstride_sbrr_dirReg,@function
fft_rtc_back_len1350_factors_5_10_3_3_3_wgs_135_tpt_135_halfLds_dp_op_CI_CI_unitstride_sbrr_dirReg: ; @fft_rtc_back_len1350_factors_5_10_3_3_3_wgs_135_tpt_135_halfLds_dp_op_CI_CI_unitstride_sbrr_dirReg
; %bb.0:
	s_clause 0x2
	s_load_b128 s[4:7], s[0:1], 0x0
	s_load_b128 s[8:11], s[0:1], 0x58
	;; [unrolled: 1-line block ×3, first 2 shown]
	v_mul_u32_u24_e32 v1, 0x1e6, v0
	v_mov_b32_e32 v4, 0
	v_mov_b32_e32 v5, 0
	s_delay_alu instid0(VALU_DEP_3) | instskip(NEXT) | instid1(VALU_DEP_1)
	v_lshrrev_b32_e32 v2, 16, v1
	v_dual_mov_b32 v1, 0 :: v_dual_add_nc_u32 v6, ttmp9, v2
	s_delay_alu instid0(VALU_DEP_1) | instskip(SKIP_2) | instid1(VALU_DEP_1)
	v_mov_b32_e32 v7, v1
	s_wait_kmcnt 0x0
	v_cmp_lt_u64_e64 s2, s[6:7], 2
	s_and_b32 vcc_lo, exec_lo, s2
	s_cbranch_vccnz .LBB0_8
; %bb.1:
	s_load_b64 s[2:3], s[0:1], 0x10
	v_mov_b32_e32 v4, 0
	v_mov_b32_e32 v5, 0
	s_add_nc_u64 s[16:17], s[14:15], 8
	s_add_nc_u64 s[18:19], s[12:13], 8
	s_mov_b64 s[20:21], 1
	s_delay_alu instid0(VALU_DEP_1)
	v_dual_mov_b32 v41, v5 :: v_dual_mov_b32 v40, v4
	s_wait_kmcnt 0x0
	s_add_nc_u64 s[22:23], s[2:3], 8
	s_mov_b32 s3, 0
.LBB0_2:                                ; =>This Inner Loop Header: Depth=1
	s_load_b64 s[24:25], s[22:23], 0x0
                                        ; implicit-def: $vgpr42_vgpr43
	s_mov_b32 s2, exec_lo
	s_wait_kmcnt 0x0
	v_or_b32_e32 v2, s25, v7
	s_delay_alu instid0(VALU_DEP_1)
	v_cmpx_ne_u64_e32 0, v[1:2]
	s_wait_alu 0xfffe
	s_xor_b32 s26, exec_lo, s2
	s_cbranch_execz .LBB0_4
; %bb.3:                                ;   in Loop: Header=BB0_2 Depth=1
	s_cvt_f32_u32 s2, s24
	s_cvt_f32_u32 s27, s25
	s_sub_nc_u64 s[30:31], 0, s[24:25]
	s_wait_alu 0xfffe
	s_delay_alu instid0(SALU_CYCLE_1) | instskip(SKIP_1) | instid1(SALU_CYCLE_2)
	s_fmamk_f32 s2, s27, 0x4f800000, s2
	s_wait_alu 0xfffe
	v_s_rcp_f32 s2, s2
	s_delay_alu instid0(TRANS32_DEP_1) | instskip(SKIP_1) | instid1(SALU_CYCLE_2)
	s_mul_f32 s2, s2, 0x5f7ffffc
	s_wait_alu 0xfffe
	s_mul_f32 s27, s2, 0x2f800000
	s_wait_alu 0xfffe
	s_delay_alu instid0(SALU_CYCLE_2) | instskip(SKIP_1) | instid1(SALU_CYCLE_2)
	s_trunc_f32 s27, s27
	s_wait_alu 0xfffe
	s_fmamk_f32 s2, s27, 0xcf800000, s2
	s_cvt_u32_f32 s29, s27
	s_wait_alu 0xfffe
	s_delay_alu instid0(SALU_CYCLE_1) | instskip(SKIP_1) | instid1(SALU_CYCLE_2)
	s_cvt_u32_f32 s28, s2
	s_wait_alu 0xfffe
	s_mul_u64 s[34:35], s[30:31], s[28:29]
	s_wait_alu 0xfffe
	s_mul_hi_u32 s37, s28, s35
	s_mul_i32 s36, s28, s35
	s_mul_hi_u32 s2, s28, s34
	s_mul_i32 s33, s29, s34
	s_wait_alu 0xfffe
	s_add_nc_u64 s[36:37], s[2:3], s[36:37]
	s_mul_hi_u32 s27, s29, s34
	s_mul_hi_u32 s38, s29, s35
	s_add_co_u32 s2, s36, s33
	s_wait_alu 0xfffe
	s_add_co_ci_u32 s2, s37, s27
	s_mul_i32 s34, s29, s35
	s_add_co_ci_u32 s35, s38, 0
	s_wait_alu 0xfffe
	s_add_nc_u64 s[34:35], s[2:3], s[34:35]
	s_wait_alu 0xfffe
	v_add_co_u32 v2, s2, s28, s34
	s_delay_alu instid0(VALU_DEP_1) | instskip(SKIP_1) | instid1(VALU_DEP_1)
	s_cmp_lg_u32 s2, 0
	s_add_co_ci_u32 s29, s29, s35
	v_readfirstlane_b32 s28, v2
	s_wait_alu 0xfffe
	s_delay_alu instid0(VALU_DEP_1)
	s_mul_u64 s[30:31], s[30:31], s[28:29]
	s_wait_alu 0xfffe
	s_mul_hi_u32 s35, s28, s31
	s_mul_i32 s34, s28, s31
	s_mul_hi_u32 s2, s28, s30
	s_mul_i32 s33, s29, s30
	s_wait_alu 0xfffe
	s_add_nc_u64 s[34:35], s[2:3], s[34:35]
	s_mul_hi_u32 s27, s29, s30
	s_mul_hi_u32 s28, s29, s31
	s_wait_alu 0xfffe
	s_add_co_u32 s2, s34, s33
	s_add_co_ci_u32 s2, s35, s27
	s_mul_i32 s30, s29, s31
	s_add_co_ci_u32 s31, s28, 0
	s_wait_alu 0xfffe
	s_add_nc_u64 s[30:31], s[2:3], s[30:31]
	s_wait_alu 0xfffe
	v_add_co_u32 v8, s2, v2, s30
	s_delay_alu instid0(VALU_DEP_1) | instskip(SKIP_1) | instid1(VALU_DEP_1)
	s_cmp_lg_u32 s2, 0
	s_add_co_ci_u32 s2, s29, s31
	v_mul_hi_u32 v12, v6, v8
	s_wait_alu 0xfffe
	v_mad_co_u64_u32 v[2:3], null, v6, s2, 0
	v_mad_co_u64_u32 v[8:9], null, v7, v8, 0
	;; [unrolled: 1-line block ×3, first 2 shown]
	s_delay_alu instid0(VALU_DEP_3) | instskip(SKIP_1) | instid1(VALU_DEP_4)
	v_add_co_u32 v2, vcc_lo, v12, v2
	s_wait_alu 0xfffd
	v_add_co_ci_u32_e32 v3, vcc_lo, 0, v3, vcc_lo
	s_delay_alu instid0(VALU_DEP_2) | instskip(SKIP_1) | instid1(VALU_DEP_2)
	v_add_co_u32 v2, vcc_lo, v2, v8
	s_wait_alu 0xfffd
	v_add_co_ci_u32_e32 v2, vcc_lo, v3, v9, vcc_lo
	s_wait_alu 0xfffd
	v_add_co_ci_u32_e32 v3, vcc_lo, 0, v11, vcc_lo
	s_delay_alu instid0(VALU_DEP_2) | instskip(SKIP_1) | instid1(VALU_DEP_2)
	v_add_co_u32 v8, vcc_lo, v2, v10
	s_wait_alu 0xfffd
	v_add_co_ci_u32_e32 v9, vcc_lo, 0, v3, vcc_lo
	s_delay_alu instid0(VALU_DEP_2) | instskip(SKIP_1) | instid1(VALU_DEP_3)
	v_mul_lo_u32 v10, s25, v8
	v_mad_co_u64_u32 v[2:3], null, s24, v8, 0
	v_mul_lo_u32 v11, s24, v9
	s_delay_alu instid0(VALU_DEP_2) | instskip(NEXT) | instid1(VALU_DEP_2)
	v_sub_co_u32 v2, vcc_lo, v6, v2
	v_add3_u32 v3, v3, v11, v10
	s_delay_alu instid0(VALU_DEP_1) | instskip(SKIP_1) | instid1(VALU_DEP_1)
	v_sub_nc_u32_e32 v10, v7, v3
	s_wait_alu 0xfffd
	v_subrev_co_ci_u32_e64 v10, s2, s25, v10, vcc_lo
	v_add_co_u32 v11, s2, v8, 2
	s_wait_alu 0xf1ff
	v_add_co_ci_u32_e64 v12, s2, 0, v9, s2
	v_sub_co_u32 v13, s2, v2, s24
	v_sub_co_ci_u32_e32 v3, vcc_lo, v7, v3, vcc_lo
	s_wait_alu 0xf1ff
	v_subrev_co_ci_u32_e64 v10, s2, 0, v10, s2
	s_delay_alu instid0(VALU_DEP_3) | instskip(NEXT) | instid1(VALU_DEP_3)
	v_cmp_le_u32_e32 vcc_lo, s24, v13
	v_cmp_eq_u32_e64 s2, s25, v3
	s_wait_alu 0xfffd
	v_cndmask_b32_e64 v13, 0, -1, vcc_lo
	v_cmp_le_u32_e32 vcc_lo, s25, v10
	s_wait_alu 0xfffd
	v_cndmask_b32_e64 v14, 0, -1, vcc_lo
	v_cmp_le_u32_e32 vcc_lo, s24, v2
	;; [unrolled: 3-line block ×3, first 2 shown]
	s_wait_alu 0xfffd
	v_cndmask_b32_e64 v15, 0, -1, vcc_lo
	v_cmp_eq_u32_e32 vcc_lo, s25, v10
	s_wait_alu 0xf1ff
	s_delay_alu instid0(VALU_DEP_2)
	v_cndmask_b32_e64 v2, v15, v2, s2
	s_wait_alu 0xfffd
	v_cndmask_b32_e32 v10, v14, v13, vcc_lo
	v_add_co_u32 v13, vcc_lo, v8, 1
	s_wait_alu 0xfffd
	v_add_co_ci_u32_e32 v14, vcc_lo, 0, v9, vcc_lo
	s_delay_alu instid0(VALU_DEP_3) | instskip(SKIP_1) | instid1(VALU_DEP_2)
	v_cmp_ne_u32_e32 vcc_lo, 0, v10
	s_wait_alu 0xfffd
	v_dual_cndmask_b32 v3, v14, v12 :: v_dual_cndmask_b32 v10, v13, v11
	v_cmp_ne_u32_e32 vcc_lo, 0, v2
	s_wait_alu 0xfffd
	s_delay_alu instid0(VALU_DEP_2)
	v_dual_cndmask_b32 v43, v9, v3 :: v_dual_cndmask_b32 v42, v8, v10
.LBB0_4:                                ;   in Loop: Header=BB0_2 Depth=1
	s_wait_alu 0xfffe
	s_and_not1_saveexec_b32 s2, s26
	s_cbranch_execz .LBB0_6
; %bb.5:                                ;   in Loop: Header=BB0_2 Depth=1
	v_cvt_f32_u32_e32 v2, s24
	s_sub_co_i32 s26, 0, s24
	v_mov_b32_e32 v43, v1
	s_delay_alu instid0(VALU_DEP_2) | instskip(NEXT) | instid1(TRANS32_DEP_1)
	v_rcp_iflag_f32_e32 v2, v2
	v_mul_f32_e32 v2, 0x4f7ffffe, v2
	s_delay_alu instid0(VALU_DEP_1) | instskip(SKIP_1) | instid1(VALU_DEP_1)
	v_cvt_u32_f32_e32 v2, v2
	s_wait_alu 0xfffe
	v_mul_lo_u32 v3, s26, v2
	s_delay_alu instid0(VALU_DEP_1) | instskip(NEXT) | instid1(VALU_DEP_1)
	v_mul_hi_u32 v3, v2, v3
	v_add_nc_u32_e32 v2, v2, v3
	s_delay_alu instid0(VALU_DEP_1) | instskip(NEXT) | instid1(VALU_DEP_1)
	v_mul_hi_u32 v2, v6, v2
	v_mul_lo_u32 v3, v2, s24
	v_add_nc_u32_e32 v8, 1, v2
	s_delay_alu instid0(VALU_DEP_2) | instskip(NEXT) | instid1(VALU_DEP_1)
	v_sub_nc_u32_e32 v3, v6, v3
	v_subrev_nc_u32_e32 v9, s24, v3
	v_cmp_le_u32_e32 vcc_lo, s24, v3
	s_wait_alu 0xfffd
	s_delay_alu instid0(VALU_DEP_2) | instskip(NEXT) | instid1(VALU_DEP_1)
	v_dual_cndmask_b32 v3, v3, v9 :: v_dual_cndmask_b32 v2, v2, v8
	v_cmp_le_u32_e32 vcc_lo, s24, v3
	s_delay_alu instid0(VALU_DEP_2) | instskip(SKIP_1) | instid1(VALU_DEP_1)
	v_add_nc_u32_e32 v8, 1, v2
	s_wait_alu 0xfffd
	v_cndmask_b32_e32 v42, v2, v8, vcc_lo
.LBB0_6:                                ;   in Loop: Header=BB0_2 Depth=1
	s_wait_alu 0xfffe
	s_or_b32 exec_lo, exec_lo, s2
	v_mul_lo_u32 v8, v43, s24
	s_delay_alu instid0(VALU_DEP_2)
	v_mul_lo_u32 v9, v42, s25
	s_load_b64 s[26:27], s[18:19], 0x0
	v_mad_co_u64_u32 v[2:3], null, v42, s24, 0
	s_load_b64 s[24:25], s[16:17], 0x0
	s_add_nc_u64 s[20:21], s[20:21], 1
	s_add_nc_u64 s[16:17], s[16:17], 8
	s_wait_alu 0xfffe
	v_cmp_ge_u64_e64 s2, s[20:21], s[6:7]
	s_add_nc_u64 s[18:19], s[18:19], 8
	s_add_nc_u64 s[22:23], s[22:23], 8
	v_add3_u32 v3, v3, v9, v8
	v_sub_co_u32 v2, vcc_lo, v6, v2
	s_wait_alu 0xfffd
	s_delay_alu instid0(VALU_DEP_2) | instskip(SKIP_2) | instid1(VALU_DEP_1)
	v_sub_co_ci_u32_e32 v3, vcc_lo, v7, v3, vcc_lo
	s_and_b32 vcc_lo, exec_lo, s2
	s_wait_kmcnt 0x0
	v_mul_lo_u32 v6, s26, v3
	v_mul_lo_u32 v7, s27, v2
	v_mad_co_u64_u32 v[4:5], null, s26, v2, v[4:5]
	v_mul_lo_u32 v3, s24, v3
	v_mul_lo_u32 v8, s25, v2
	v_mad_co_u64_u32 v[40:41], null, s24, v2, v[40:41]
	s_delay_alu instid0(VALU_DEP_4) | instskip(NEXT) | instid1(VALU_DEP_2)
	v_add3_u32 v5, v7, v5, v6
	v_add3_u32 v41, v8, v41, v3
	s_wait_alu 0xfffe
	s_cbranch_vccnz .LBB0_9
; %bb.7:                                ;   in Loop: Header=BB0_2 Depth=1
	v_dual_mov_b32 v6, v42 :: v_dual_mov_b32 v7, v43
	s_branch .LBB0_2
.LBB0_8:
	v_dual_mov_b32 v41, v5 :: v_dual_mov_b32 v40, v4
	v_dual_mov_b32 v43, v7 :: v_dual_mov_b32 v42, v6
.LBB0_9:
	s_load_b64 s[0:1], s[0:1], 0x28
	v_mul_hi_u32 v1, 0x1e573ad, v0
	s_lshl_b64 s[6:7], s[6:7], 3
                                        ; implicit-def: $vgpr74
	s_wait_kmcnt 0x0
	v_cmp_gt_u64_e32 vcc_lo, s[0:1], v[42:43]
	v_cmp_le_u64_e64 s0, s[0:1], v[42:43]
	s_delay_alu instid0(VALU_DEP_1)
	s_and_saveexec_b32 s1, s0
	s_wait_alu 0xfffe
	s_xor_b32 s0, exec_lo, s1
; %bb.10:
	v_mul_u32_u24_e32 v1, 0x87, v1
                                        ; implicit-def: $vgpr4_vgpr5
	s_delay_alu instid0(VALU_DEP_1)
	v_sub_nc_u32_e32 v74, v0, v1
                                        ; implicit-def: $vgpr1
                                        ; implicit-def: $vgpr0
; %bb.11:
	s_wait_alu 0xfffe
	s_or_saveexec_b32 s1, s0
	s_add_nc_u64 s[2:3], s[14:15], s[6:7]
                                        ; implicit-def: $vgpr6_vgpr7
                                        ; implicit-def: $vgpr14_vgpr15
                                        ; implicit-def: $vgpr26_vgpr27
                                        ; implicit-def: $vgpr30_vgpr31
                                        ; implicit-def: $vgpr22_vgpr23
                                        ; implicit-def: $vgpr2_vgpr3
                                        ; implicit-def: $vgpr10_vgpr11
                                        ; implicit-def: $vgpr34_vgpr35
                                        ; implicit-def: $vgpr38_vgpr39
                                        ; implicit-def: $vgpr18_vgpr19
	s_wait_alu 0xfffe
	s_xor_b32 exec_lo, exec_lo, s1
	s_cbranch_execz .LBB0_13
; %bb.12:
	s_add_nc_u64 s[6:7], s[12:13], s[6:7]
	s_load_b64 s[6:7], s[6:7], 0x0
	s_wait_kmcnt 0x0
	v_mul_lo_u32 v6, s7, v42
	v_mul_lo_u32 v7, s6, v43
	v_mad_co_u64_u32 v[2:3], null, s6, v42, 0
	s_delay_alu instid0(VALU_DEP_1) | instskip(SKIP_1) | instid1(VALU_DEP_2)
	v_add3_u32 v3, v3, v7, v6
	v_mul_u32_u24_e32 v6, 0x87, v1
	v_lshlrev_b64_e32 v[1:2], 4, v[2:3]
	v_lshlrev_b64_e32 v[3:4], 4, v[4:5]
	s_delay_alu instid0(VALU_DEP_3) | instskip(NEXT) | instid1(VALU_DEP_3)
	v_sub_nc_u32_e32 v74, v0, v6
	v_add_co_u32 v0, s0, s8, v1
	s_wait_alu 0xf1ff
	s_delay_alu instid0(VALU_DEP_4) | instskip(NEXT) | instid1(VALU_DEP_3)
	v_add_co_ci_u32_e64 v1, s0, s9, v2, s0
	v_lshlrev_b32_e32 v2, 4, v74
	s_delay_alu instid0(VALU_DEP_3) | instskip(SKIP_1) | instid1(VALU_DEP_3)
	v_add_co_u32 v0, s0, v0, v3
	s_wait_alu 0xf1ff
	v_add_co_ci_u32_e64 v1, s0, v1, v4, s0
	s_delay_alu instid0(VALU_DEP_2) | instskip(SKIP_1) | instid1(VALU_DEP_2)
	v_add_co_u32 v4, s0, v0, v2
	s_wait_alu 0xf1ff
	v_add_co_ci_u32_e64 v5, s0, 0, v1, s0
	s_clause 0x9
	global_load_b128 v[16:19], v[4:5], off
	global_load_b128 v[20:23], v[4:5], off offset:2160
	global_load_b128 v[36:39], v[4:5], off offset:4320
	;; [unrolled: 1-line block ×9, first 2 shown]
.LBB0_13:
	s_or_b32 exec_lo, exec_lo, s1
	s_wait_loadcnt 0x3
	v_add_f64_e32 v[44:45], v[8:9], v[32:33]
	s_wait_loadcnt 0x1
	v_add_f64_e32 v[46:47], v[0:1], v[36:37]
	;; [unrolled: 2-line block ×3, first 2 shown]
	v_add_f64_e32 v[50:51], v[12:13], v[24:25]
	v_add_f64_e32 v[52:53], v[36:37], v[16:17]
	;; [unrolled: 1-line block ×4, first 2 shown]
	v_add_f64_e64 v[60:61], v[38:39], -v[2:3]
	v_add_f64_e64 v[62:63], v[34:35], -v[10:11]
	v_add_f64_e32 v[64:65], v[14:15], v[26:27]
	v_add_f64_e32 v[66:67], v[6:7], v[30:31]
	s_mov_b32 s8, 0x134454ff
	s_mov_b32 s9, 0xbfee6f0e
	s_mov_b32 s7, 0x3fee6f0e
	s_wait_alu 0xfffe
	s_mov_b32 s6, s8
	v_add_f64_e32 v[54:55], v[38:39], v[18:19]
	v_add_f64_e64 v[68:69], v[36:37], -v[32:33]
	v_add_f64_e64 v[70:71], v[0:1], -v[8:9]
	;; [unrolled: 1-line block ×5, first 2 shown]
	v_add_f64_e32 v[79:80], v[28:29], v[20:21]
	v_add_f64_e32 v[81:82], v[30:31], v[22:23]
	v_add_f64_e64 v[85:86], v[30:31], -v[6:7]
	v_add_f64_e64 v[91:92], v[24:25], -v[28:29]
	;; [unrolled: 1-line block ×6, first 2 shown]
	s_mov_b32 s14, 0x4755a5e
	s_mov_b32 s15, 0xbfe2cf23
	;; [unrolled: 1-line block ×4, first 2 shown]
	v_add_f64_e64 v[83:84], v[38:39], -v[34:35]
	v_add_f64_e64 v[38:39], v[34:35], -v[38:39]
	;; [unrolled: 1-line block ×4, first 2 shown]
	s_mov_b32 s16, 0x372fe950
	v_fma_f64 v[44:45], v[44:45], -0.5, v[16:17]
	v_fma_f64 v[16:17], v[46:47], -0.5, v[16:17]
	v_add_f64_e64 v[46:47], v[26:27], -v[14:15]
	v_fma_f64 v[48:49], v[48:49], -0.5, v[20:21]
	v_fma_f64 v[20:21], v[50:51], -0.5, v[20:21]
	v_add_f64_e32 v[32:33], v[32:33], v[52:53]
	v_add_f64_e64 v[50:51], v[12:13], -v[4:5]
	v_fma_f64 v[52:53], v[56:57], -0.5, v[18:19]
	v_fma_f64 v[18:19], v[58:59], -0.5, v[18:19]
	v_fma_f64 v[58:59], v[64:65], -0.5, v[22:23]
	v_fma_f64 v[22:23], v[66:67], -0.5, v[22:23]
	s_mov_b32 s17, 0x3fd3c6ef
	s_load_b64 s[2:3], s[2:3], 0x0
	s_mov_b32 s18, 0x9b97f4a8
	s_mov_b32 s19, 0x3fe9e377
	v_add_f64_e32 v[34:35], v[34:35], v[54:55]
	v_add_f64_e64 v[54:55], v[30:31], -v[26:27]
	v_add_f64_e64 v[30:31], v[26:27], -v[30:31]
	v_add_f64_e32 v[68:69], v[70:71], v[68:69]
	s_mov_b32 s1, 0xbfd3c6ef
	s_mov_b32 s0, s16
	v_add_f64_e32 v[24:25], v[24:25], v[79:80]
	v_add_f64_e32 v[26:27], v[26:27], v[81:82]
	v_add_f64_e64 v[79:80], v[2:3], -v[10:11]
	v_add_f64_e64 v[81:82], v[10:11], -v[2:3]
	s_mov_b32 s21, 0xbfe9e377
	s_mov_b32 s20, s18
	v_add_f64_e32 v[87:88], v[89:90], v[87:88]
	v_add_f64_e64 v[89:90], v[14:15], -v[6:7]
	v_add_f64_e32 v[75:76], v[75:76], v[72:73]
	v_and_b32_e32 v72, 0xff, v74
	v_fma_f64 v[56:57], v[60:61], s[8:9], v[44:45]
	v_fma_f64 v[44:45], v[60:61], s[6:7], v[44:45]
	;; [unrolled: 1-line block ×8, first 2 shown]
	v_add_f64_e32 v[50:51], v[50:51], v[91:92]
	v_fma_f64 v[91:92], v[36:37], s[6:7], v[52:53]
	v_fma_f64 v[52:53], v[36:37], s[8:9], v[52:53]
	v_add_f64_e32 v[32:33], v[8:9], v[32:33]
	v_mul_lo_u16 v8, 0xcd, v72
	v_add_f64_e32 v[9:10], v[10:11], v[34:35]
	v_add_f64_e32 v[54:55], v[95:96], v[54:55]
	s_delay_alu instid0(VALU_DEP_3)
	v_lshrrev_b16 v8, 10, v8
	v_add_f64_e32 v[12:13], v[12:13], v[24:25]
	v_add_f64_e32 v[14:15], v[14:15], v[26:27]
	;; [unrolled: 1-line block ×4, first 2 shown]
	v_fma_f64 v[56:57], v[62:63], s[14:15], v[56:57]
	v_fma_f64 v[44:45], v[62:63], s[12:13], v[44:45]
	;; [unrolled: 1-line block ×14, first 2 shown]
	v_add_f64_e32 v[46:47], v[79:80], v[83:84]
	v_fma_f64 v[26:27], v[77:78], s[12:13], v[91:92]
	v_add_f64_e32 v[0:1], v[0:1], v[32:33]
	v_add_f64_e32 v[2:3], v[2:3], v[9:10]
	;; [unrolled: 1-line block ×4, first 2 shown]
	v_mul_lo_u16 v13, v8, 5
	v_and_b32_e32 v8, 0xffff, v8
	s_delay_alu instid0(VALU_DEP_2) | instskip(NEXT) | instid1(VALU_DEP_2)
	v_sub_nc_u16 v13, v74, v13
	v_mul_u32_u24_e32 v8, 0x190, v8
	s_delay_alu instid0(VALU_DEP_2) | instskip(NEXT) | instid1(VALU_DEP_1)
	v_and_b32_e32 v9, 0xff, v13
	v_mul_u32_u24_e32 v10, 9, v9
	v_fma_f64 v[11:12], v[68:69], s[16:17], v[56:57]
	v_fma_f64 v[34:35], v[36:37], s[12:13], v[62:63]
	;; [unrolled: 1-line block ×16, first 2 shown]
	v_mad_u32_u24 v62, v74, 40, 0
	v_lshlrev_b32_e32 v63, 5, v74
	v_lshlrev_b32_e32 v9, 3, v9
	s_delay_alu instid0(VALU_DEP_2) | instskip(NEXT) | instid1(VALU_DEP_1)
	v_sub_nc_u32_e32 v75, v62, v63
	v_add_nc_u32_e32 v76, 0x800, v75
	v_add_nc_u32_e32 v73, 0x1000, v75
	;; [unrolled: 1-line block ×4, first 2 shown]
	v_fma_f64 v[50:51], v[38:39], s[16:17], v[34:35]
	v_fma_f64 v[38:39], v[38:39], s[16:17], v[18:19]
	;; [unrolled: 1-line block ×7, first 2 shown]
	v_lshlrev_b32_e32 v60, 4, v10
	v_add_nc_u32_e32 v54, 0x1518, v62
	v_add_nc_u32_e32 v55, 0x1528, v62
	ds_store_2addr_b64 v62, v[0:1], v[11:12] offset1:1
	ds_store_2addr_b64 v62, v[32:33], v[16:17] offset0:2 offset1:3
	ds_store_2addr_b64 v54, v[4:5], v[24:25] offset1:1
	ds_store_2addr_b64 v55, v[56:57], v[48:49] offset1:1
	ds_store_b64 v62, v[44:45] offset:32
	ds_store_b64 v62, v[20:21] offset:5432
	global_wb scope:SCOPE_SE
	s_wait_dscnt 0x0
	s_wait_kmcnt 0x0
	s_barrier_signal -1
	s_barrier_wait -1
	global_inv scope:SCOPE_SE
	ds_load_2addr_b64 v[10:13], v75 offset1:135
	ds_load_2addr_b64 v[14:17], v76 offset0:14 offset1:149
	ds_load_2addr_b64 v[18:21], v73 offset0:28 offset1:163
	;; [unrolled: 1-line block ×4, first 2 shown]
	global_wb scope:SCOPE_SE
	s_wait_dscnt 0x0
	s_barrier_signal -1
	s_barrier_wait -1
	global_inv scope:SCOPE_SE
	ds_store_2addr_b64 v62, v[2:3], v[26:27] offset1:1
	ds_store_2addr_b64 v62, v[50:51], v[38:39] offset0:2 offset1:3
	ds_store_2addr_b64 v54, v[6:7], v[36:37] offset1:1
	ds_store_2addr_b64 v55, v[58:59], v[22:23] offset1:1
	ds_store_b64 v62, v[46:47] offset:32
	ds_store_b64 v62, v[52:53] offset:5432
	global_wb scope:SCOPE_SE
	s_wait_dscnt 0x0
	s_barrier_signal -1
	s_barrier_wait -1
	global_inv scope:SCOPE_SE
	s_clause 0x8
	global_load_b128 v[0:3], v60, s[4:5] offset:32
	global_load_b128 v[4:7], v60, s[4:5] offset:64
	;; [unrolled: 1-line block ×6, first 2 shown]
	global_load_b128 v[48:51], v60, s[4:5]
	global_load_b128 v[56:59], v60, s[4:5] offset:48
	global_load_b128 v[60:63], v60, s[4:5] offset:80
	ds_load_2addr_b64 v[64:67], v76 offset0:14 offset1:149
	ds_load_2addr_b64 v[68:71], v73 offset0:28 offset1:163
	;; [unrolled: 1-line block ×4, first 2 shown]
	s_wait_loadcnt_dscnt 0x803
	v_mul_f64_e32 v[26:27], v[66:67], v[2:3]
	v_mul_f64_e32 v[2:3], v[16:17], v[2:3]
	s_wait_loadcnt_dscnt 0x702
	v_mul_f64_e32 v[85:86], v[70:71], v[6:7]
	v_mul_f64_e32 v[6:7], v[20:21], v[6:7]
	s_wait_loadcnt 0x6
	v_mul_f64_e32 v[87:88], v[34:35], v[24:25]
	s_wait_dscnt 0x1
	v_mul_f64_e32 v[89:90], v[79:80], v[24:25]
	v_fma_f64 v[16:17], v[16:17], v[0:1], v[26:27]
	v_fma_f64 v[26:27], v[66:67], v[0:1], -v[2:3]
	s_wait_loadcnt 0x5
	v_mul_f64_e32 v[66:67], v[30:31], v[38:39]
	s_wait_dscnt 0x0
	v_mul_f64_e32 v[38:39], v[83:84], v[38:39]
	v_fma_f64 v[20:21], v[20:21], v[4:5], v[85:86]
	v_fma_f64 v[24:25], v[70:71], v[4:5], -v[6:7]
	v_fma_f64 v[6:7], v[79:80], v[22:23], -v[87:88]
	v_fma_f64 v[22:23], v[34:35], v[22:23], v[89:90]
	s_wait_loadcnt 0x4
	v_mul_f64_e32 v[34:35], v[64:65], v[46:47]
	s_wait_loadcnt 0x3
	v_mul_f64_e32 v[70:71], v[81:82], v[54:55]
	ds_load_2addr_b64 v[0:3], v75 offset1:135
	v_mul_f64_e32 v[54:55], v[28:29], v[54:55]
	global_wb scope:SCOPE_SE
	s_wait_loadcnt_dscnt 0x0
	s_barrier_signal -1
	s_barrier_wait -1
	global_inv scope:SCOPE_SE
	v_fma_f64 v[4:5], v[83:84], v[36:37], -v[66:67]
	v_fma_f64 v[36:37], v[30:31], v[36:37], v[38:39]
	v_mul_f64_e32 v[38:39], v[12:13], v[50:51]
	v_mul_f64_e32 v[50:51], v[2:3], v[50:51]
	;; [unrolled: 1-line block ×3, first 2 shown]
	v_add_f64_e64 v[85:86], v[16:17], -v[20:21]
	v_fma_f64 v[30:31], v[14:15], v[44:45], v[34:35]
	v_mul_f64_e32 v[14:15], v[14:15], v[46:47]
	v_mul_f64_e32 v[46:47], v[68:69], v[58:59]
	v_fma_f64 v[34:35], v[28:29], v[52:53], v[70:71]
	v_add_f64_e64 v[79:80], v[26:27], -v[4:5]
	v_add_f64_e64 v[83:84], v[4:5], -v[6:7]
	v_fma_f64 v[28:29], v[2:3], v[48:49], -v[38:39]
	v_add_f64_e32 v[2:3], v[24:25], v[6:7]
	v_add_f64_e32 v[38:39], v[26:27], v[4:5]
	v_fma_f64 v[12:13], v[12:13], v[48:49], v[50:51]
	v_fma_f64 v[50:51], v[32:33], v[60:61], v[66:67]
	v_mul_f64_e32 v[32:33], v[32:33], v[62:63]
	v_fma_f64 v[48:49], v[18:19], v[56:57], v[46:47]
	v_mul_f64_e32 v[18:19], v[18:19], v[58:59]
	v_add_f64_e32 v[58:59], v[20:21], v[22:23]
	v_fma_f64 v[46:47], v[64:65], v[44:45], -v[14:15]
	v_add_f64_e32 v[14:15], v[16:17], v[36:37]
	v_add_f64_e64 v[62:63], v[16:17], -v[36:37]
	v_add_f64_e64 v[44:45], v[20:21], -v[22:23]
	v_add_f64_e32 v[70:71], v[30:31], v[34:35]
	v_add_f64_e64 v[87:88], v[36:37], -v[22:23]
	v_add_f64_e64 v[89:90], v[22:23], -v[36:37]
	v_fma_f64 v[64:65], v[2:3], -0.5, v[28:29]
	v_fma_f64 v[38:39], v[38:39], -0.5, v[28:29]
	v_fma_f64 v[2:3], v[81:82], v[52:53], -v[54:55]
	v_add_f64_e64 v[81:82], v[26:27], -v[24:25]
	v_fma_f64 v[52:53], v[77:78], v[60:61], -v[32:33]
	v_add_f64_e32 v[66:67], v[48:49], v[50:51]
	v_fma_f64 v[54:55], v[68:69], v[56:57], -v[18:19]
	v_fma_f64 v[58:59], v[58:59], -0.5, v[12:13]
	v_add_f64_e64 v[18:19], v[24:25], -v[26:27]
	v_add_f64_e64 v[32:33], v[6:7], -v[4:5]
	v_add_f64_e64 v[56:57], v[24:25], -v[6:7]
	v_fma_f64 v[14:15], v[14:15], -0.5, v[12:13]
	v_add_f64_e32 v[12:13], v[12:13], v[16:17]
	v_add_f64_e32 v[77:78], v[10:11], v[30:31]
	v_add_f64_e64 v[16:17], v[20:21], -v[16:17]
	v_add_f64_e32 v[85:86], v[85:86], v[87:88]
	v_add_f64_e64 v[87:88], v[50:51], -v[34:35]
	v_fma_f64 v[60:61], v[62:63], s[6:7], v[64:65]
	v_fma_f64 v[68:69], v[44:45], s[8:9], v[38:39]
	;; [unrolled: 1-line block ×4, first 2 shown]
	v_add_f64_e64 v[91:92], v[46:47], -v[2:3]
	v_fma_f64 v[66:67], v[66:67], -0.5, v[10:11]
	v_fma_f64 v[10:11], v[70:71], -0.5, v[10:11]
	v_add_f64_e32 v[81:82], v[81:82], v[83:84]
	v_fma_f64 v[70:71], v[79:80], s[8:9], v[58:59]
	v_fma_f64 v[58:59], v[79:80], s[6:7], v[58:59]
	v_add_f64_e64 v[83:84], v[54:55], -v[52:53]
	v_add_f64_e32 v[18:19], v[18:19], v[32:33]
	v_fma_f64 v[32:33], v[56:57], s[6:7], v[14:15]
	v_fma_f64 v[14:15], v[56:57], s[8:9], v[14:15]
	v_add_f64_e32 v[12:13], v[12:13], v[20:21]
	v_add_f64_e32 v[16:17], v[16:17], v[89:90]
	;; [unrolled: 1-line block ×3, first 2 shown]
	v_add_f64_e64 v[20:21], v[48:49], -v[30:31]
	v_fma_f64 v[60:61], v[44:45], s[12:13], v[60:61]
	v_fma_f64 v[68:69], v[62:63], s[12:13], v[68:69]
	;; [unrolled: 1-line block ×4, first 2 shown]
	v_add_f64_e64 v[62:63], v[30:31], -v[48:49]
	v_add_f64_e64 v[64:65], v[34:35], -v[50:51]
	v_fma_f64 v[89:90], v[91:92], s[8:9], v[66:67]
	v_fma_f64 v[93:94], v[91:92], s[6:7], v[66:67]
	;; [unrolled: 1-line block ×8, first 2 shown]
	v_add_f64_e32 v[12:13], v[12:13], v[22:23]
	v_add_f64_e32 v[20:21], v[20:21], v[87:88]
	v_fma_f64 v[70:71], v[81:82], s[16:17], v[60:61]
	v_fma_f64 v[68:69], v[18:19], s[16:17], v[68:69]
	v_fma_f64 v[66:67], v[18:19], s[16:17], v[38:39]
	v_fma_f64 v[60:61], v[81:82], s[16:17], v[44:45]
	v_add_f64_e32 v[38:39], v[77:78], v[50:51]
	v_add_f64_e32 v[18:19], v[62:63], v[64:65]
	v_fma_f64 v[22:23], v[83:84], s[14:15], v[89:90]
	v_fma_f64 v[44:45], v[83:84], s[12:13], v[93:94]
	v_fma_f64 v[56:57], v[85:86], s[16:17], v[56:57]
	v_fma_f64 v[77:78], v[91:92], s[14:15], v[58:59]
	v_fma_f64 v[58:59], v[85:86], s[16:17], v[95:96]
	v_fma_f64 v[10:11], v[91:92], s[12:13], v[10:11]
	v_fma_f64 v[64:65], v[16:17], s[16:17], v[14:15]
	v_fma_f64 v[62:63], v[16:17], s[16:17], v[32:33]
	v_add_f64_e32 v[12:13], v[12:13], v[36:37]
	v_mul_f64_e32 v[14:15], s[14:15], v[70:71]
	v_mul_f64_e32 v[16:17], s[8:9], v[68:69]
	v_mul_f64_e32 v[32:33], s[8:9], v[66:67]
	v_mul_f64_e32 v[79:80], s[14:15], v[60:61]
	v_add_f64_e32 v[38:39], v[38:39], v[34:35]
	v_fma_f64 v[22:23], v[18:19], s[16:17], v[22:23]
	v_fma_f64 v[18:19], v[18:19], s[16:17], v[44:45]
	;; [unrolled: 1-line block ×3, first 2 shown]
	v_add3_u32 v78, 0, v8, v9
	v_fma_f64 v[10:11], v[20:21], s[16:17], v[10:11]
	v_add_nc_u32_e32 v77, 0x1c00, v75
	v_fma_f64 v[14:15], v[58:59], s[18:19], v[14:15]
	v_fma_f64 v[16:17], v[62:63], s[16:17], v[16:17]
	s_wait_alu 0xfffe
	v_fma_f64 v[20:21], v[64:65], s[0:1], v[32:33]
	v_fma_f64 v[32:33], v[56:57], s[20:21], v[79:80]
	v_add_f64_e32 v[44:45], v[38:39], v[12:13]
	v_add_f64_e64 v[12:13], v[38:39], -v[12:13]
	v_cmp_gt_u32_e64 s0, 45, v74
	v_add_f64_e32 v[38:39], v[22:23], v[14:15]
	v_add_f64_e32 v[79:80], v[36:37], v[16:17]
	v_add_f64_e32 v[81:82], v[10:11], v[20:21]
	v_add_f64_e32 v[83:84], v[18:19], v[32:33]
	v_add_f64_e64 v[14:15], v[22:23], -v[14:15]
	v_add_f64_e64 v[16:17], v[36:37], -v[16:17]
	v_add_f64_e64 v[10:11], v[10:11], -v[20:21]
	v_add_f64_e64 v[32:33], v[18:19], -v[32:33]
	ds_store_2addr_b64 v78, v[44:45], v[38:39] offset1:5
	ds_store_2addr_b64 v78, v[79:80], v[81:82] offset0:10 offset1:15
	ds_store_2addr_b64 v78, v[83:84], v[12:13] offset0:20 offset1:25
	;; [unrolled: 1-line block ×4, first 2 shown]
	global_wb scope:SCOPE_SE
	s_wait_dscnt 0x0
	s_barrier_signal -1
	s_barrier_wait -1
	global_inv scope:SCOPE_SE
	ds_load_2addr_b64 v[12:15], v75 offset1:135
	ds_load_2addr_b64 v[8:11], v76 offset0:14 offset1:194
	ds_load_2addr_b64 v[20:23], v77 offset0:4 offset1:139
	;; [unrolled: 1-line block ×3, first 2 shown]
	ds_load_b64 v[36:37], v75 offset:9360
                                        ; implicit-def: $vgpr38_vgpr39
                                        ; implicit-def: $vgpr44_vgpr45
	s_and_saveexec_b32 s1, s0
	s_cbranch_execz .LBB0_15
; %bb.14:
	ds_load_b64 v[32:33], v75 offset:3240
	ds_load_b64 v[44:45], v75 offset:6840
	;; [unrolled: 1-line block ×3, first 2 shown]
.LBB0_15:
	s_wait_alu 0xfffe
	s_or_b32 exec_lo, exec_lo, s1
	v_add_f64_e32 v[79:80], v[54:55], v[52:53]
	v_add_f64_e32 v[81:82], v[46:47], v[2:3]
	v_add_f64_e32 v[83:84], v[0:1], v[46:47]
	v_add_f64_e64 v[30:31], v[30:31], -v[34:35]
	v_add_f64_e32 v[26:27], v[28:29], v[26:27]
	v_add_f64_e64 v[28:29], v[48:49], -v[50:51]
	v_add_f64_e64 v[48:49], v[46:47], -v[54:55]
	;; [unrolled: 1-line block ×4, first 2 shown]
	v_mul_f64_e32 v[70:71], s[18:19], v[70:71]
	v_mul_f64_e32 v[68:69], s[16:17], v[68:69]
	v_mul_f64_e32 v[66:67], s[16:17], v[66:67]
	v_mul_f64_e32 v[60:61], s[18:19], v[60:61]
	global_wb scope:SCOPE_SE
	s_wait_dscnt 0x0
	s_barrier_signal -1
	s_barrier_wait -1
	global_inv scope:SCOPE_SE
	v_fma_f64 v[34:35], v[79:80], -0.5, v[0:1]
	v_fma_f64 v[0:1], v[81:82], -0.5, v[0:1]
	v_add_f64_e32 v[54:55], v[83:84], v[54:55]
	v_add_f64_e32 v[24:25], v[26:27], v[24:25]
	v_add_f64_e64 v[26:27], v[52:53], -v[2:3]
	v_add_f64_e32 v[48:49], v[48:49], v[50:51]
	v_fma_f64 v[79:80], v[30:31], s[6:7], v[34:35]
	v_fma_f64 v[81:82], v[28:29], s[8:9], v[0:1]
	;; [unrolled: 1-line block ×4, first 2 shown]
	v_add_f64_e32 v[50:51], v[54:55], v[52:53]
	v_add_f64_e32 v[6:7], v[24:25], v[6:7]
	;; [unrolled: 1-line block ×3, first 2 shown]
	v_fma_f64 v[52:53], v[64:65], s[6:7], -v[66:67]
	v_fma_f64 v[26:27], v[28:29], s[12:13], v[79:80]
	v_fma_f64 v[46:47], v[30:31], s[12:13], v[81:82]
	;; [unrolled: 1-line block ×5, first 2 shown]
	v_add_f64_e32 v[2:3], v[50:51], v[2:3]
	v_add_f64_e32 v[4:5], v[6:7], v[4:5]
	v_fma_f64 v[34:35], v[62:63], s[6:7], v[68:69]
	v_fma_f64 v[6:7], v[56:57], s[12:13], -v[60:61]
	v_fma_f64 v[26:27], v[48:49], s[16:17], v[26:27]
	v_fma_f64 v[46:47], v[24:25], s[16:17], v[46:47]
	;; [unrolled: 1-line block ×4, first 2 shown]
	v_add_f64_e32 v[28:29], v[2:3], v[4:5]
	v_add_f64_e64 v[2:3], v[2:3], -v[4:5]
	v_add_f64_e32 v[4:5], v[26:27], v[30:31]
	v_add_f64_e32 v[48:49], v[46:47], v[34:35]
	;; [unrolled: 1-line block ×4, first 2 shown]
	v_add_f64_e64 v[26:27], v[26:27], -v[30:31]
	v_add_f64_e64 v[30:31], v[46:47], -v[34:35]
	;; [unrolled: 1-line block ×4, first 2 shown]
                                        ; implicit-def: $vgpr46_vgpr47
	ds_store_2addr_b64 v78, v[28:29], v[4:5] offset1:5
	ds_store_2addr_b64 v78, v[48:49], v[50:51] offset0:10 offset1:15
	ds_store_2addr_b64 v78, v[54:55], v[2:3] offset0:20 offset1:25
	;; [unrolled: 1-line block ×4, first 2 shown]
	global_wb scope:SCOPE_SE
	s_wait_dscnt 0x0
	s_barrier_signal -1
	s_barrier_wait -1
	global_inv scope:SCOPE_SE
	ds_load_2addr_b64 v[4:7], v75 offset1:135
	ds_load_2addr_b64 v[0:3], v76 offset0:14 offset1:194
	ds_load_2addr_b64 v[28:31], v77 offset0:4 offset1:139
	;; [unrolled: 1-line block ×3, first 2 shown]
	ds_load_b64 v[50:51], v75 offset:9360
                                        ; implicit-def: $vgpr48_vgpr49
	s_and_saveexec_b32 s1, s0
	s_cbranch_execz .LBB0_17
; %bb.16:
	ds_load_b64 v[34:35], v75 offset:3240
	ds_load_b64 v[48:49], v75 offset:6840
	;; [unrolled: 1-line block ×3, first 2 shown]
.LBB0_17:
	s_wait_alu 0xfffe
	s_or_b32 exec_lo, exec_lo, s1
	v_add_nc_u32_e32 v77, 0x87, v74
	v_add_nc_u32_e32 v78, 0x10e, v74
	;; [unrolled: 1-line block ×3, first 2 shown]
	s_mov_b32 s6, 0xe8584caa
	s_mov_b32 s7, 0xbfebb67a
	v_lshrrev_b16 v52, 1, v77
	v_lshrrev_b16 v53, 1, v78
	;; [unrolled: 1-line block ×3, first 2 shown]
	s_mov_b32 s9, 0x3febb67a
	s_wait_alu 0xfffe
	s_mov_b32 s8, s6
	v_and_b32_e32 v52, 0xffff, v52
	v_and_b32_e32 v79, 0xffff, v53
	v_mul_lo_u16 v53, v72, 41
	v_and_b32_e32 v80, 0xffff, v54
	s_delay_alu instid0(VALU_DEP_4) | instskip(NEXT) | instid1(VALU_DEP_4)
	v_mul_u32_u24_e32 v52, 0x147b, v52
	v_mul_u32_u24_e32 v54, 0x147b, v79
	s_delay_alu instid0(VALU_DEP_4) | instskip(NEXT) | instid1(VALU_DEP_3)
	v_lshrrev_b16 v111, 11, v53
	v_lshrrev_b32_e32 v112, 17, v52
	v_mul_u32_u24_e32 v52, 0x147b, v80
	s_delay_alu instid0(VALU_DEP_4) | instskip(NEXT) | instid1(VALU_DEP_4)
	v_lshrrev_b32_e32 v113, 17, v54
	v_mul_lo_u16 v53, v111, 50
	s_delay_alu instid0(VALU_DEP_4) | instskip(NEXT) | instid1(VALU_DEP_4)
	v_mul_lo_u16 v54, v112, 50
	v_lshrrev_b32_e32 v52, 17, v52
	s_delay_alu instid0(VALU_DEP_4) | instskip(NEXT) | instid1(VALU_DEP_4)
	v_mul_lo_u16 v55, v113, 50
	v_sub_nc_u16 v53, v74, v53
	s_delay_alu instid0(VALU_DEP_4) | instskip(NEXT) | instid1(VALU_DEP_4)
	v_sub_nc_u16 v54, v77, v54
	v_mul_lo_u16 v52, v52, 50
	s_delay_alu instid0(VALU_DEP_4) | instskip(NEXT) | instid1(VALU_DEP_4)
	v_sub_nc_u16 v55, v78, v55
	v_and_b32_e32 v114, 0xff, v53
	s_delay_alu instid0(VALU_DEP_4) | instskip(NEXT) | instid1(VALU_DEP_4)
	v_and_b32_e32 v115, 0xffff, v54
	v_sub_nc_u16 v52, v76, v52
	s_delay_alu instid0(VALU_DEP_4) | instskip(NEXT) | instid1(VALU_DEP_4)
	v_and_b32_e32 v116, 0xffff, v55
	v_lshlrev_b32_e32 v53, 5, v114
	s_delay_alu instid0(VALU_DEP_4) | instskip(NEXT) | instid1(VALU_DEP_4)
	v_lshlrev_b32_e32 v54, 5, v115
	v_and_b32_e32 v117, 0xffff, v52
	s_delay_alu instid0(VALU_DEP_4)
	v_lshlrev_b32_e32 v52, 5, v116
	s_clause 0x2
	global_load_b128 v[66:69], v53, s[4:5] offset:736
	global_load_b128 v[70:73], v54, s[4:5] offset:736
	;; [unrolled: 1-line block ×3, first 2 shown]
	v_lshlrev_b32_e32 v53, 5, v117
	s_clause 0x4
	global_load_b128 v[85:88], v54, s[4:5] offset:720
	global_load_b128 v[89:92], v52, s[4:5] offset:720
	;; [unrolled: 1-line block ×5, first 2 shown]
	global_wb scope:SCOPE_SE
	s_wait_loadcnt_dscnt 0x0
	s_barrier_signal -1
	s_barrier_wait -1
	global_inv scope:SCOPE_SE
	v_mul_f64_e32 v[52:53], v[28:29], v[68:69]
	v_mul_f64_e32 v[56:57], v[30:31], v[72:73]
	;; [unrolled: 1-line block ×14, first 2 shown]
	v_fma_f64 v[54:55], v[20:21], v[66:67], v[52:53]
	v_fma_f64 v[52:53], v[22:23], v[70:71], v[56:57]
	v_mul_f64_e32 v[20:21], v[44:45], v[99:100]
	v_fma_f64 v[64:65], v[10:11], v[81:82], v[58:59]
	v_mul_f64_e32 v[22:23], v[38:39], v[103:104]
	v_fma_f64 v[58:59], v[18:19], v[89:90], v[62:63]
	v_fma_f64 v[62:63], v[36:37], v[93:94], v[105:106]
	;; [unrolled: 1-line block ×5, first 2 shown]
	v_fma_f64 v[10:11], v[28:29], v[66:67], -v[68:69]
	v_fma_f64 v[66:67], v[2:3], v[81:82], -v[83:84]
	;; [unrolled: 1-line block ×7, first 2 shown]
	v_add_f64_e32 v[16:17], v[64:65], v[54:55]
	v_fma_f64 v[48:49], v[46:47], v[101:102], -v[22:23]
	v_add_f64_e32 v[24:25], v[12:13], v[64:65]
	v_add_f64_e32 v[20:21], v[58:59], v[62:63]
	;; [unrolled: 1-line block ×6, first 2 shown]
	v_add_f64_e64 v[26:27], v[66:67], -v[10:11]
	v_add_f64_e32 v[28:29], v[14:15], v[60:61]
	v_fma_f64 v[12:13], v[16:17], -0.5, v[12:13]
	v_add_f64_e64 v[16:17], v[68:69], -v[2:3]
	v_add_f64_e32 v[24:25], v[24:25], v[54:55]
	v_fma_f64 v[8:9], v[20:21], -0.5, v[8:9]
	v_add_f64_e64 v[20:21], v[72:73], -v[48:49]
	v_fma_f64 v[22:23], v[22:23], -0.5, v[32:33]
	v_fma_f64 v[14:15], v[18:19], -0.5, v[14:15]
	v_add_f64_e64 v[18:19], v[70:71], -v[50:51]
	v_add_f64_e32 v[32:33], v[36:37], v[38:39]
	v_add_f64_e32 v[28:29], v[28:29], v[52:53]
	;; [unrolled: 1-line block ×3, first 2 shown]
	v_fma_f64 v[46:47], v[26:27], s[6:7], v[12:13]
	s_wait_alu 0xfffe
	v_fma_f64 v[26:27], v[26:27], s[8:9], v[12:13]
	v_mul_u32_u24_e32 v12, 0x4b0, v112
	v_mul_u32_u24_e32 v13, 0x4b0, v113
	v_fma_f64 v[36:37], v[20:21], s[6:7], v[22:23]
	v_fma_f64 v[44:45], v[20:21], s[8:9], v[22:23]
	;; [unrolled: 1-line block ×6, first 2 shown]
	v_and_b32_e32 v8, 0xffff, v111
	v_lshlrev_b32_e32 v9, 3, v114
	v_lshlrev_b32_e32 v20, 3, v115
	;; [unrolled: 1-line block ×3, first 2 shown]
	s_delay_alu instid0(VALU_DEP_4) | instskip(NEXT) | instid1(VALU_DEP_3)
	v_mul_u32_u24_e32 v8, 0x4b0, v8
	v_add3_u32 v12, 0, v12, v20
	s_delay_alu instid0(VALU_DEP_3) | instskip(NEXT) | instid1(VALU_DEP_3)
	v_add3_u32 v13, 0, v13, v21
	v_add3_u32 v9, 0, v8, v9
	v_lshl_add_u32 v8, v117, 3, 0
	ds_store_2addr_b64 v9, v[24:25], v[46:47] offset1:50
	ds_store_b64 v9, v[26:27] offset:800
	ds_store_2addr_b64 v12, v[28:29], v[81:82] offset1:50
	ds_store_b64 v12, v[14:15] offset:800
	;; [unrolled: 2-line block ×3, first 2 shown]
	s_and_saveexec_b32 s1, s0
	s_cbranch_execz .LBB0_19
; %bb.18:
	v_add_nc_u32_e32 v14, 0x2000, v8
	ds_store_2addr_b64 v14, v[32:33], v[36:37] offset0:176 offset1:226
	ds_store_b64 v8, v[44:45] offset:10400
.LBB0_19:
	s_wait_alu 0xfffe
	s_or_b32 exec_lo, exec_lo, s1
	v_add_nc_u32_e32 v14, 0x800, v75
	v_add_nc_u32_e32 v15, 0x1c00, v75
	;; [unrolled: 1-line block ×3, first 2 shown]
	global_wb scope:SCOPE_SE
	s_wait_dscnt 0x0
	s_barrier_signal -1
	s_barrier_wait -1
	global_inv scope:SCOPE_SE
	ds_load_2addr_b64 v[20:23], v75 offset1:135
	ds_load_2addr_b64 v[16:19], v14 offset0:14 offset1:194
	ds_load_2addr_b64 v[28:31], v15 offset0:4 offset1:139
	;; [unrolled: 1-line block ×3, first 2 shown]
	ds_load_b64 v[46:47], v75 offset:9360
	s_and_saveexec_b32 s1, s0
	s_cbranch_execz .LBB0_21
; %bb.20:
	ds_load_b64 v[32:33], v75 offset:3240
	ds_load_b64 v[36:37], v75 offset:6840
	;; [unrolled: 1-line block ×3, first 2 shown]
.LBB0_21:
	s_wait_alu 0xfffe
	s_or_b32 exec_lo, exec_lo, s1
	v_add_f64_e32 v[14:15], v[66:67], v[10:11]
	v_add_f64_e32 v[85:86], v[72:73], v[48:49]
	;; [unrolled: 1-line block ×5, first 2 shown]
	v_add_f64_e64 v[54:55], v[64:65], -v[54:55]
	v_add_f64_e32 v[64:65], v[6:7], v[68:69]
	v_add_f64_e32 v[68:69], v[0:1], v[70:71]
	;; [unrolled: 1-line block ×3, first 2 shown]
	v_add_f64_e64 v[56:57], v[56:57], -v[38:39]
	s_mov_b32 s6, 0xe8584caa
	s_mov_b32 s7, 0x3febb67a
	;; [unrolled: 1-line block ×3, first 2 shown]
	s_wait_alu 0xfffe
	s_mov_b32 s8, s6
	global_wb scope:SCOPE_SE
	s_wait_dscnt 0x0
	s_barrier_signal -1
	s_barrier_wait -1
	global_inv scope:SCOPE_SE
	v_fma_f64 v[4:5], v[14:15], -0.5, v[4:5]
	v_fma_f64 v[34:35], v[85:86], -0.5, v[34:35]
	v_add_f64_e64 v[14:15], v[60:61], -v[52:53]
	v_fma_f64 v[6:7], v[81:82], -0.5, v[6:7]
	v_add_f64_e64 v[52:53], v[58:59], -v[62:63]
	v_fma_f64 v[0:1], v[83:84], -0.5, v[0:1]
	v_add_f64_e32 v[10:11], v[66:67], v[10:11]
	v_add_f64_e32 v[2:3], v[64:65], v[2:3]
	;; [unrolled: 1-line block ×4, first 2 shown]
	v_fma_f64 v[58:59], v[54:55], s[6:7], v[4:5]
	v_fma_f64 v[48:49], v[56:57], s[6:7], v[34:35]
	s_wait_alu 0xfffe
	v_fma_f64 v[34:35], v[56:57], s[8:9], v[34:35]
	v_fma_f64 v[4:5], v[54:55], s[8:9], v[4:5]
	;; [unrolled: 1-line block ×6, first 2 shown]
	ds_store_2addr_b64 v9, v[10:11], v[58:59] offset1:50
	ds_store_b64 v9, v[4:5] offset:800
	ds_store_2addr_b64 v12, v[2:3], v[54:55] offset1:50
	ds_store_b64 v12, v[6:7] offset:800
	;; [unrolled: 2-line block ×3, first 2 shown]
	s_and_saveexec_b32 s1, s0
	s_cbranch_execz .LBB0_23
; %bb.22:
	v_add_nc_u32_e32 v0, 0x2000, v8
	ds_store_2addr_b64 v0, v[38:39], v[48:49] offset0:176 offset1:226
	ds_store_b64 v8, v[34:35] offset:10400
.LBB0_23:
	s_wait_alu 0xfffe
	s_or_b32 exec_lo, exec_lo, s1
	v_add_nc_u32_e32 v0, 0x800, v75
	v_add_nc_u32_e32 v1, 0x1c00, v75
	;; [unrolled: 1-line block ×3, first 2 shown]
	global_wb scope:SCOPE_SE
	s_wait_dscnt 0x0
	s_barrier_signal -1
	s_barrier_wait -1
	global_inv scope:SCOPE_SE
	ds_load_2addr_b64 v[12:15], v75 offset1:135
	ds_load_2addr_b64 v[8:11], v0 offset0:14 offset1:194
	ds_load_2addr_b64 v[4:7], v1 offset0:4 offset1:139
	;; [unrolled: 1-line block ×3, first 2 shown]
	ds_load_b64 v[52:53], v75 offset:9360
	s_and_saveexec_b32 s1, s0
	s_cbranch_execz .LBB0_25
; %bb.24:
	ds_load_b64 v[38:39], v75 offset:3240
	ds_load_b64 v[48:49], v75 offset:6840
	;; [unrolled: 1-line block ×3, first 2 shown]
.LBB0_25:
	s_wait_alu 0xfffe
	s_or_b32 exec_lo, exec_lo, s1
	v_dual_mov_b32 v51, 0 :: v_dual_add_nc_u32 v54, -15, v74
	v_mul_u32_u24_e32 v55, 0xda75, v79
	v_cmp_gt_u32_e64 s1, 15, v74
	v_mul_u32_u24_e32 v56, 0xda75, v80
	v_lshlrev_b32_e32 v50, 1, v74
	s_mov_b32 s6, 0xe8584caa
	v_lshrrev_b32_e32 v110, 22, v55
	s_wait_alu 0xf1ff
	v_cndmask_b32_e64 v109, v54, v77, s1
	v_lshrrev_b32_e32 v56, 22, v56
	v_lshlrev_b64_e32 v[54:55], 4, v[50:51]
	s_mov_b32 s7, 0xbfebb67a
	v_mul_lo_u16 v58, 0x96, v110
	v_lshlrev_b32_e32 v50, 1, v109
	v_mul_lo_u16 v59, 0x96, v56
	s_mov_b32 s9, 0x3febb67a
	s_wait_alu 0xfffe
	s_mov_b32 s8, s6
	v_sub_nc_u16 v58, v78, v58
	v_lshlrev_b64_e32 v[56:57], 4, v[50:51]
	v_sub_nc_u16 v59, v76, v59
	v_add_co_u32 v50, s1, s4, v54
	s_wait_alu 0xf1ff
	v_add_co_ci_u32_e64 v51, s1, s5, v55, s1
	v_and_b32_e32 v111, 0xffff, v58
	v_add_co_u32 v54, s1, s4, v56
	v_and_b32_e32 v112, 0xffff, v59
	s_wait_alu 0xf1ff
	v_add_co_ci_u32_e64 v55, s1, s5, v57, s1
	v_lshlrev_b32_e32 v56, 5, v111
	s_clause 0x1
	global_load_b128 v[60:63], v[50:51], off offset:2336
	global_load_b128 v[64:67], v[50:51], off offset:2320
	v_lshlrev_b32_e32 v57, 5, v112
	s_clause 0x5
	global_load_b128 v[68:71], v[54:55], off offset:2336
	global_load_b128 v[79:82], v[54:55], off offset:2320
	global_load_b128 v[83:86], v56, s[4:5] offset:2320
	global_load_b128 v[87:90], v56, s[4:5] offset:2336
	;; [unrolled: 1-line block ×4, first 2 shown]
	v_cmp_lt_u32_e64 s1, 14, v74
	global_wb scope:SCOPE_SE
	s_wait_loadcnt_dscnt 0x0
	s_barrier_signal -1
	s_barrier_wait -1
	global_inv scope:SCOPE_SE
	v_mul_f64_e32 v[72:73], v[6:7], v[70:71]
	v_mul_f64_e32 v[99:100], v[0:1], v[81:82]
	;; [unrolled: 1-line block ×15, first 2 shown]
	v_fma_f64 v[54:55], v[28:29], v[60:61], v[54:55]
	v_fma_f64 v[58:59], v[18:19], v[64:65], v[56:57]
	;; [unrolled: 1-line block ×3, first 2 shown]
	v_mul_f64_e32 v[18:19], v[44:45], v[97:98]
	v_fma_f64 v[30:31], v[26:27], v[83:84], v[101:102]
	v_fma_f64 v[46:47], v[46:47], v[87:88], v[103:104]
	;; [unrolled: 1-line block ×5, first 2 shown]
	v_fma_f64 v[24:25], v[4:5], v[60:61], -v[62:63]
	v_fma_f64 v[62:63], v[10:11], v[64:65], -v[66:67]
	;; [unrolled: 1-line block ×7, first 2 shown]
	v_add_f64_e32 v[0:1], v[58:59], v[54:55]
	v_fma_f64 v[48:49], v[34:35], v[95:96], -v[18:19]
	v_add_f64_e32 v[18:19], v[20:21], v[58:59]
	v_add_f64_e32 v[4:5], v[30:31], v[46:47]
	;; [unrolled: 1-line block ×6, first 2 shown]
	v_add_f64_e64 v[34:35], v[62:63], -v[24:25]
	v_add_f64_e32 v[70:71], v[32:33], v[26:27]
	v_fma_f64 v[0:1], v[0:1], -0.5, v[20:21]
	v_add_f64_e64 v[20:21], v[64:65], -v[10:11]
	v_add_f64_e32 v[18:19], v[18:19], v[54:55]
	v_fma_f64 v[4:5], v[4:5], -0.5, v[16:17]
	v_add_f64_e64 v[16:17], v[68:69], -v[48:49]
	v_fma_f64 v[6:7], v[6:7], -0.5, v[32:33]
	v_fma_f64 v[2:3], v[2:3], -0.5, v[22:23]
	v_add_f64_e64 v[22:23], v[66:67], -v[60:61]
	v_add_f64_e32 v[79:80], v[36:37], v[28:29]
	v_add_f64_e32 v[32:33], v[70:71], v[44:45]
	;; [unrolled: 1-line block ×3, first 2 shown]
	v_lshl_add_u32 v70, v112, 3, 0
	v_fma_f64 v[81:82], v[34:35], s[6:7], v[0:1]
	s_wait_alu 0xfffe
	v_fma_f64 v[0:1], v[34:35], s[8:9], v[0:1]
	v_fma_f64 v[34:35], v[16:17], s[6:7], v[6:7]
	;; [unrolled: 1-line block ×7, first 2 shown]
	s_wait_alu 0xf1ff
	v_cndmask_b32_e64 v6, 0, 0xe10, s1
	v_lshlrev_b32_e32 v7, 3, v109
	v_mul_u32_u24_e32 v16, 0xe10, v110
	s_delay_alu instid0(VALU_DEP_2) | instskip(SKIP_1) | instid1(VALU_DEP_1)
	v_add3_u32 v71, 0, v6, v7
	v_lshlrev_b32_e32 v6, 3, v111
	v_add3_u32 v72, 0, v16, v6
	ds_store_2addr_b64 v75, v[18:19], v[81:82] offset1:150
	ds_store_b64 v75, v[0:1] offset:2400
	ds_store_2addr_b64 v71, v[79:80], v[83:84] offset1:150
	ds_store_b64 v71, v[2:3] offset:2400
	;; [unrolled: 2-line block ×3, first 2 shown]
	s_and_saveexec_b32 s1, s0
	s_cbranch_execz .LBB0_27
; %bb.26:
	v_add_nc_u32_e32 v0, 0x1c00, v70
	ds_store_2addr_b64 v0, v[32:33], v[34:35] offset0:4 offset1:154
	ds_store_b64 v70, v[36:37] offset:9600
.LBB0_27:
	s_wait_alu 0xfffe
	s_or_b32 exec_lo, exec_lo, s1
	v_add_nc_u32_e32 v0, 0x800, v75
	v_add_nc_u32_e32 v16, 0x1c00, v75
	;; [unrolled: 1-line block ×3, first 2 shown]
	global_wb scope:SCOPE_SE
	s_wait_dscnt 0x0
	s_barrier_signal -1
	s_barrier_wait -1
	global_inv scope:SCOPE_SE
	ds_load_2addr_b64 v[4:7], v75 offset1:135
	ds_load_2addr_b64 v[0:3], v0 offset0:14 offset1:194
	ds_load_2addr_b64 v[20:23], v16 offset0:4 offset1:139
	;; [unrolled: 1-line block ×3, first 2 shown]
	ds_load_b64 v[52:53], v75 offset:9360
	s_and_saveexec_b32 s1, s0
	s_cbranch_execz .LBB0_29
; %bb.28:
	ds_load_b64 v[32:33], v75 offset:3240
	ds_load_b64 v[34:35], v75 offset:6840
	ds_load_b64 v[36:37], v75 offset:10440
.LBB0_29:
	s_wait_alu 0xfffe
	s_or_b32 exec_lo, exec_lo, s1
	v_add_f64_e32 v[79:80], v[62:63], v[24:25]
	v_add_f64_e32 v[85:86], v[68:69], v[48:49]
	;; [unrolled: 1-line block ×5, first 2 shown]
	v_add_f64_e64 v[54:55], v[58:59], -v[54:55]
	v_add_f64_e32 v[58:59], v[14:15], v[64:65]
	v_add_f64_e32 v[64:65], v[8:9], v[66:67]
	;; [unrolled: 1-line block ×3, first 2 shown]
	v_add_f64_e64 v[30:31], v[30:31], -v[46:47]
	v_add_f64_e64 v[26:27], v[26:27], -v[44:45]
	;; [unrolled: 1-line block ×3, first 2 shown]
	s_mov_b32 s6, 0xe8584caa
	s_mov_b32 s7, 0x3febb67a
	;; [unrolled: 1-line block ×3, first 2 shown]
	s_wait_alu 0xfffe
	s_mov_b32 s8, s6
	global_wb scope:SCOPE_SE
	s_wait_dscnt 0x0
	s_barrier_signal -1
	s_barrier_wait -1
	global_inv scope:SCOPE_SE
	v_fma_f64 v[12:13], v[79:80], -0.5, v[12:13]
	v_fma_f64 v[46:47], v[85:86], -0.5, v[38:39]
	;; [unrolled: 1-line block ×4, first 2 shown]
	v_add_f64_e32 v[24:25], v[62:63], v[24:25]
	v_add_f64_e32 v[10:11], v[58:59], v[10:11]
	;; [unrolled: 1-line block ×4, first 2 shown]
	v_fma_f64 v[58:59], v[54:55], s[6:7], v[12:13]
	v_fma_f64 v[44:45], v[26:27], s[6:7], v[46:47]
	s_wait_alu 0xfffe
	v_fma_f64 v[48:49], v[26:27], s[8:9], v[46:47]
	v_fma_f64 v[12:13], v[54:55], s[8:9], v[12:13]
	;; [unrolled: 1-line block ×6, first 2 shown]
	ds_store_2addr_b64 v75, v[24:25], v[58:59] offset1:150
	ds_store_b64 v75, v[12:13] offset:2400
	ds_store_2addr_b64 v71, v[10:11], v[54:55] offset1:150
	ds_store_b64 v71, v[14:15] offset:2400
	;; [unrolled: 2-line block ×3, first 2 shown]
	s_and_saveexec_b32 s1, s0
	s_cbranch_execz .LBB0_31
; %bb.30:
	v_add_nc_u32_e32 v8, 0x1c00, v70
	ds_store_2addr_b64 v8, v[38:39], v[44:45] offset0:4 offset1:154
	ds_store_b64 v70, v[48:49] offset:9600
.LBB0_31:
	s_wait_alu 0xfffe
	s_or_b32 exec_lo, exec_lo, s1
	v_add_nc_u32_e32 v12, 0x800, v75
	v_add_nc_u32_e32 v24, 0x1c00, v75
	;; [unrolled: 1-line block ×3, first 2 shown]
	global_wb scope:SCOPE_SE
	s_wait_dscnt 0x0
	s_barrier_signal -1
	s_barrier_wait -1
	global_inv scope:SCOPE_SE
	ds_load_2addr_b64 v[8:11], v75 offset1:135
	ds_load_2addr_b64 v[12:15], v12 offset0:14 offset1:194
	ds_load_2addr_b64 v[24:27], v24 offset0:4 offset1:139
	;; [unrolled: 1-line block ×3, first 2 shown]
	ds_load_b64 v[54:55], v75 offset:9360
	s_and_saveexec_b32 s1, s0
	s_cbranch_execz .LBB0_33
; %bb.32:
	ds_load_b64 v[38:39], v75 offset:3240
	ds_load_b64 v[44:45], v75 offset:6840
	;; [unrolled: 1-line block ×3, first 2 shown]
.LBB0_33:
	s_wait_alu 0xfffe
	s_or_b32 exec_lo, exec_lo, s1
	s_and_saveexec_b32 s1, vcc_lo
	s_cbranch_execz .LBB0_36
; %bb.34:
	v_dual_mov_b32 v47, 0 :: v_dual_lshlrev_b32 v46, 1, v78
	s_clause 0x1
	global_load_b128 v[56:59], v[50:51], off offset:7136
	global_load_b128 v[60:63], v[50:51], off offset:7120
	v_add_nc_u32_e32 v75, 0x87, v74
	v_add_nc_u32_e32 v95, 0x10e, v74
	v_lshlrev_b64_e32 v[40:41], 4, v[40:41]
	v_lshlrev_b64_e32 v[64:65], 4, v[46:47]
	v_lshlrev_b32_e32 v46, 1, v77
	s_mov_b32 s7, 0x3febb67a
	s_delay_alu instid0(VALU_DEP_1) | instskip(NEXT) | instid1(VALU_DEP_3)
	v_lshlrev_b64_e32 v[50:51], 4, v[46:47]
	v_add_co_u32 v68, vcc_lo, s4, v64
	s_wait_alu 0xfffd
	v_add_co_ci_u32_e32 v69, vcc_lo, s5, v65, vcc_lo
	v_mul_lo_u32 v46, s2, v43
	s_delay_alu instid0(VALU_DEP_4)
	v_add_co_u32 v50, vcc_lo, s4, v50
	s_wait_alu 0xfffd
	v_add_co_ci_u32_e32 v51, vcc_lo, s5, v51, vcc_lo
	s_clause 0x3
	global_load_b128 v[64:67], v[68:69], off offset:7120
	global_load_b128 v[68:71], v[68:69], off offset:7136
	global_load_b128 v[77:80], v[50:51], off offset:7120
	global_load_b128 v[81:84], v[50:51], off offset:7136
	s_wait_loadcnt 0x5
	v_mul_f64_e32 v[72:73], v[20:21], v[58:59]
	s_wait_loadcnt 0x4
	v_mul_f64_e32 v[50:51], v[2:3], v[62:63]
	s_wait_dscnt 0x3
	v_mul_f64_e32 v[62:63], v[14:15], v[62:63]
	s_wait_dscnt 0x2
	v_mul_f64_e32 v[58:59], v[24:25], v[58:59]
	s_wait_loadcnt 0x3
	v_mul_f64_e32 v[85:86], v[18:19], v[66:67]
	s_wait_loadcnt 0x2
	;; [unrolled: 2-line block ×4, first 2 shown]
	v_mul_f64_e32 v[91:92], v[22:23], v[83:84]
	s_wait_dscnt 0x1
	v_mul_f64_e32 v[79:80], v[28:29], v[79:80]
	v_mul_f64_e32 v[83:84], v[26:27], v[83:84]
	;; [unrolled: 1-line block ×3, first 2 shown]
	s_wait_dscnt 0x0
	v_mul_f64_e32 v[70:71], v[54:55], v[70:71]
	v_fma_f64 v[24:25], v[24:25], v[56:57], -v[72:73]
	v_fma_f64 v[14:15], v[14:15], v[60:61], -v[50:51]
	v_fma_f64 v[50:51], v[2:3], v[60:61], v[62:63]
	v_fma_f64 v[20:21], v[20:21], v[56:57], v[58:59]
	v_mul_lo_u32 v3, s3, v42
	v_mad_co_u64_u32 v[42:43], null, s2, v42, 0
	s_mov_b32 s2, 0xe8584caa
	s_mov_b32 s3, 0xbfebb67a
	s_wait_alu 0xfffe
	s_mov_b32 s6, s2
	v_add_nc_u32_e32 v2, 0x195, v74
	s_delay_alu instid0(VALU_DEP_2) | instskip(NEXT) | instid1(VALU_DEP_2)
	v_add3_u32 v43, v43, v46, v3
	v_cmp_gt_u32_e32 vcc_lo, 0x1c2, v2
	s_delay_alu instid0(VALU_DEP_2)
	v_lshlrev_b64_e32 v[42:43], 4, v[42:43]
	v_fma_f64 v[30:31], v[30:31], v[64:65], -v[85:86]
	v_fma_f64 v[54:55], v[54:55], v[68:69], -v[87:88]
	v_fma_f64 v[28:29], v[28:29], v[77:78], -v[89:90]
	v_fma_f64 v[26:27], v[26:27], v[81:82], -v[91:92]
	v_fma_f64 v[16:17], v[16:17], v[77:78], v[79:80]
	v_fma_f64 v[22:23], v[22:23], v[81:82], v[83:84]
	;; [unrolled: 1-line block ×4, first 2 shown]
	v_mov_b32_e32 v69, v47
	v_mul_hi_u32 v68, 0x91a2b3c5, v74
	v_mul_hi_u32 v71, 0x91a2b3c5, v95
	s_delay_alu instid0(VALU_DEP_2)
	v_lshrrev_b32_e32 v72, 8, v68
	v_mov_b32_e32 v68, v47
	v_mul_hi_u32 v70, 0x91a2b3c5, v75
	v_add_f64_e32 v[56:57], v[14:15], v[24:25]
	v_add_f64_e64 v[77:78], v[14:15], -v[24:25]
	v_add_f64_e32 v[58:59], v[50:51], v[20:21]
	v_mul_u32_u24_e32 v3, 0x1c2, v72
	v_add_f64_e32 v[72:73], v[8:9], v[14:15]
	v_add_f64_e32 v[14:15], v[4:5], v[50:51]
	v_lshrrev_b32_e32 v101, 8, v71
	v_lshrrev_b32_e32 v46, 8, v70
	v_add_f64_e64 v[70:71], v[50:51], -v[20:21]
	v_sub_nc_u32_e32 v3, v74, v3
	s_delay_alu instid0(VALU_DEP_4) | instskip(NEXT) | instid1(VALU_DEP_4)
	v_mul_u32_u24_e32 v96, 0x1c2, v101
	v_mul_u32_u24_e32 v91, 0x1c2, v46
	s_delay_alu instid0(VALU_DEP_3)
	v_lshlrev_b32_e32 v3, 4, v3
	v_add_f64_e32 v[50:51], v[12:13], v[30:31]
	v_add_f64_e32 v[60:61], v[30:31], v[54:55]
	;; [unrolled: 1-line block ×6, first 2 shown]
	v_add_f64_e64 v[87:88], v[16:17], -v[22:23]
	v_add_f64_e32 v[66:67], v[18:19], v[52:53]
	v_add_f64_e64 v[89:90], v[28:29], -v[26:27]
	v_add_f64_e32 v[79:80], v[0:1], v[18:19]
	v_add_f64_e64 v[85:86], v[18:19], -v[52:53]
	v_fma_f64 v[56:57], v[56:57], -0.5, v[8:9]
	v_fma_f64 v[58:59], v[58:59], -0.5, v[4:5]
	v_sub_nc_u32_e32 v4, v75, v91
	v_add_f64_e64 v[91:92], v[30:31], -v[54:55]
	v_sub_nc_u32_e32 v5, v95, v96
	s_delay_alu instid0(VALU_DEP_3) | instskip(NEXT) | instid1(VALU_DEP_1)
	v_mad_u32_u24 v46, 0x546, v46, v4
	v_lshlrev_b64_e32 v[95:96], 4, v[46:47]
	v_fma_f64 v[60:61], v[60:61], -0.5, v[12:13]
	v_fma_f64 v[62:63], v[62:63], -0.5, v[10:11]
	v_add_f64_e32 v[11:12], v[83:84], v[22:23]
	v_fma_f64 v[64:65], v[64:65], -0.5, v[6:7]
	v_add_f64_e32 v[9:10], v[50:51], v[54:55]
	v_fma_f64 v[93:94], v[66:67], -0.5, v[0:1]
	v_add_co_u32 v0, s1, s10, v42
	s_wait_alu 0xf1ff
	v_add_co_ci_u32_e64 v1, s1, s11, v43, s1
	v_add_nc_u32_e32 v67, 0x1c2, v46
	s_delay_alu instid0(VALU_DEP_3) | instskip(SKIP_3) | instid1(VALU_DEP_3)
	v_add_co_u32 v0, s1, v0, v40
	v_add_nc_u32_e32 v46, 0x384, v46
	s_wait_alu 0xf1ff
	v_add_co_ci_u32_e64 v1, s1, v1, v41, s1
	v_add_co_u32 v97, s1, v0, v3
	s_delay_alu instid0(VALU_DEP_3)
	v_lshlrev_b64_e32 v[99:100], 4, v[46:47]
	v_mad_u32_u24 v46, 0x546, v101, v5
	v_add_f64_e32 v[5:6], v[72:73], v[24:25]
	v_add_f64_e32 v[3:4], v[14:15], v[20:21]
	s_wait_alu 0xfffe
	v_fma_f64 v[21:22], v[70:71], s[6:7], v[56:57]
	v_fma_f64 v[19:20], v[77:78], s[2:3], v[58:59]
	;; [unrolled: 1-line block ×4, first 2 shown]
	v_add_f64_e32 v[13:14], v[81:82], v[26:27]
	v_add_f64_e32 v[7:8], v[79:80], v[52:53]
	v_lshlrev_b64_e32 v[66:67], 4, v[67:68]
	s_wait_alu 0xf1ff
	v_add_co_ci_u32_e64 v98, s1, 0, v1, s1
	v_add_co_u32 v54, s1, v0, v95
	v_add_nc_u32_e32 v68, 0x1c2, v46
	s_wait_alu 0xf1ff
	v_add_co_ci_u32_e64 v55, s1, v1, v96, s1
	v_lshlrev_b64_e32 v[56:57], 4, v[46:47]
	v_fma_f64 v[52:53], v[85:86], s[6:7], v[60:61]
	v_fma_f64 v[25:26], v[85:86], s[2:3], v[60:61]
	;; [unrolled: 1-line block ×8, first 2 shown]
	v_add_co_u32 v58, s1, v0, v66
	v_add_nc_u32_e32 v46, 0x384, v46
	s_wait_alu 0xf1ff
	v_add_co_ci_u32_e64 v59, s1, v1, v67, s1
	v_add_co_u32 v60, s1, v0, v99
	v_lshlrev_b64_e32 v[62:63], 4, v[68:69]
	s_wait_alu 0xf1ff
	v_add_co_ci_u32_e64 v61, s1, v1, v100, s1
	v_lshlrev_b64_e32 v[64:65], 4, v[46:47]
	v_add_co_u32 v56, s1, v0, v56
	s_wait_alu 0xf1ff
	v_add_co_ci_u32_e64 v57, s1, v1, v57, s1
	v_add_co_u32 v62, s1, v0, v62
	s_wait_alu 0xf1ff
	v_add_co_ci_u32_e64 v63, s1, v1, v63, s1
	;; [unrolled: 3-line block ×3, first 2 shown]
	s_clause 0x8
	global_store_b128 v[97:98], v[3:6], off
	global_store_b128 v[97:98], v[19:22], off offset:7200
	global_store_b128 v[97:98], v[15:18], off offset:14400
	global_store_b128 v[54:55], v[11:14], off
	global_store_b128 v[58:59], v[40:43], off
	;; [unrolled: 1-line block ×6, first 2 shown]
	s_and_b32 exec_lo, exec_lo, vcc_lo
	s_cbranch_execz .LBB0_36
; %bb.35:
	v_subrev_nc_u32_e32 v3, 45, v74
	s_delay_alu instid0(VALU_DEP_1) | instskip(NEXT) | instid1(VALU_DEP_1)
	v_cndmask_b32_e64 v3, v3, v76, s0
	v_lshlrev_b32_e32 v46, 1, v3
	s_delay_alu instid0(VALU_DEP_1) | instskip(SKIP_1) | instid1(VALU_DEP_2)
	v_lshlrev_b64_e32 v[3:4], 4, v[46:47]
	v_add_nc_u32_e32 v46, 0x357, v74
	v_add_co_u32 v7, vcc_lo, s4, v3
	s_wait_alu 0xfffd
	s_delay_alu instid0(VALU_DEP_3)
	v_add_co_ci_u32_e32 v8, vcc_lo, s5, v4, vcc_lo
	s_clause 0x1
	global_load_b128 v[3:6], v[7:8], off offset:7120
	global_load_b128 v[7:10], v[7:8], off offset:7136
	s_wait_loadcnt 0x1
	v_mul_f64_e32 v[11:12], v[44:45], v[5:6]
	s_wait_loadcnt 0x0
	v_mul_f64_e32 v[13:14], v[48:49], v[9:10]
	v_mul_f64_e32 v[5:6], v[34:35], v[5:6]
	;; [unrolled: 1-line block ×3, first 2 shown]
	s_delay_alu instid0(VALU_DEP_4) | instskip(NEXT) | instid1(VALU_DEP_4)
	v_fma_f64 v[11:12], v[34:35], v[3:4], v[11:12]
	v_fma_f64 v[13:14], v[36:37], v[7:8], v[13:14]
	s_delay_alu instid0(VALU_DEP_4) | instskip(NEXT) | instid1(VALU_DEP_4)
	v_fma_f64 v[3:4], v[44:45], v[3:4], -v[5:6]
	v_fma_f64 v[6:7], v[48:49], v[7:8], -v[9:10]
	s_delay_alu instid0(VALU_DEP_4) | instskip(NEXT) | instid1(VALU_DEP_4)
	v_add_f64_e32 v[17:18], v[32:33], v[11:12]
	v_add_f64_e32 v[8:9], v[11:12], v[13:14]
	s_delay_alu instid0(VALU_DEP_4) | instskip(NEXT) | instid1(VALU_DEP_4)
	v_add_f64_e32 v[21:22], v[38:39], v[3:4]
	v_add_f64_e32 v[15:16], v[3:4], v[6:7]
	v_add_f64_e64 v[19:20], v[3:4], -v[6:7]
	v_mov_b32_e32 v3, v47
	v_add_f64_e64 v[25:26], v[11:12], -v[13:14]
	s_delay_alu instid0(VALU_DEP_2) | instskip(NEXT) | instid1(VALU_DEP_1)
	v_lshlrev_b64_e32 v[2:3], 4, v[2:3]
	v_add_co_u32 v2, vcc_lo, v0, v2
	s_wait_alu 0xfffd
	s_delay_alu instid0(VALU_DEP_2) | instskip(SKIP_4) | instid1(VALU_DEP_3)
	v_add_co_ci_u32_e32 v3, vcc_lo, v1, v3, vcc_lo
	v_add_f64_e32 v[4:5], v[17:18], v[13:14]
	v_fma_f64 v[23:24], v[8:9], -0.5, v[32:33]
	v_add_f64_e32 v[6:7], v[21:22], v[6:7]
	v_fma_f64 v[15:16], v[15:16], -0.5, v[38:39]
	v_fma_f64 v[8:9], v[19:20], s[2:3], v[23:24]
	v_fma_f64 v[12:13], v[19:20], s[6:7], v[23:24]
	s_delay_alu instid0(VALU_DEP_3) | instskip(SKIP_3) | instid1(VALU_DEP_1)
	v_fma_f64 v[10:11], v[25:26], s[6:7], v[15:16]
	v_fma_f64 v[14:15], v[25:26], s[2:3], v[15:16]
	v_lshlrev_b64_e32 v[16:17], 4, v[46:47]
	v_add_nc_u32_e32 v46, 0x519, v74
	v_lshlrev_b64_e32 v[18:19], 4, v[46:47]
	s_delay_alu instid0(VALU_DEP_3) | instskip(SKIP_1) | instid1(VALU_DEP_4)
	v_add_co_u32 v16, vcc_lo, v0, v16
	s_wait_alu 0xfffd
	v_add_co_ci_u32_e32 v17, vcc_lo, v1, v17, vcc_lo
	s_delay_alu instid0(VALU_DEP_3)
	v_add_co_u32 v0, vcc_lo, v0, v18
	s_wait_alu 0xfffd
	v_add_co_ci_u32_e32 v1, vcc_lo, v1, v19, vcc_lo
	s_clause 0x2
	global_store_b128 v[2:3], v[4:7], off
	global_store_b128 v[16:17], v[8:11], off
	;; [unrolled: 1-line block ×3, first 2 shown]
.LBB0_36:
	s_nop 0
	s_sendmsg sendmsg(MSG_DEALLOC_VGPRS)
	s_endpgm
	.section	.rodata,"a",@progbits
	.p2align	6, 0x0
	.amdhsa_kernel fft_rtc_back_len1350_factors_5_10_3_3_3_wgs_135_tpt_135_halfLds_dp_op_CI_CI_unitstride_sbrr_dirReg
		.amdhsa_group_segment_fixed_size 0
		.amdhsa_private_segment_fixed_size 0
		.amdhsa_kernarg_size 104
		.amdhsa_user_sgpr_count 2
		.amdhsa_user_sgpr_dispatch_ptr 0
		.amdhsa_user_sgpr_queue_ptr 0
		.amdhsa_user_sgpr_kernarg_segment_ptr 1
		.amdhsa_user_sgpr_dispatch_id 0
		.amdhsa_user_sgpr_private_segment_size 0
		.amdhsa_wavefront_size32 1
		.amdhsa_uses_dynamic_stack 0
		.amdhsa_enable_private_segment 0
		.amdhsa_system_sgpr_workgroup_id_x 1
		.amdhsa_system_sgpr_workgroup_id_y 0
		.amdhsa_system_sgpr_workgroup_id_z 0
		.amdhsa_system_sgpr_workgroup_info 0
		.amdhsa_system_vgpr_workitem_id 0
		.amdhsa_next_free_vgpr 118
		.amdhsa_next_free_sgpr 39
		.amdhsa_reserve_vcc 1
		.amdhsa_float_round_mode_32 0
		.amdhsa_float_round_mode_16_64 0
		.amdhsa_float_denorm_mode_32 3
		.amdhsa_float_denorm_mode_16_64 3
		.amdhsa_fp16_overflow 0
		.amdhsa_workgroup_processor_mode 1
		.amdhsa_memory_ordered 1
		.amdhsa_forward_progress 0
		.amdhsa_round_robin_scheduling 0
		.amdhsa_exception_fp_ieee_invalid_op 0
		.amdhsa_exception_fp_denorm_src 0
		.amdhsa_exception_fp_ieee_div_zero 0
		.amdhsa_exception_fp_ieee_overflow 0
		.amdhsa_exception_fp_ieee_underflow 0
		.amdhsa_exception_fp_ieee_inexact 0
		.amdhsa_exception_int_div_zero 0
	.end_amdhsa_kernel
	.text
.Lfunc_end0:
	.size	fft_rtc_back_len1350_factors_5_10_3_3_3_wgs_135_tpt_135_halfLds_dp_op_CI_CI_unitstride_sbrr_dirReg, .Lfunc_end0-fft_rtc_back_len1350_factors_5_10_3_3_3_wgs_135_tpt_135_halfLds_dp_op_CI_CI_unitstride_sbrr_dirReg
                                        ; -- End function
	.section	.AMDGPU.csdata,"",@progbits
; Kernel info:
; codeLenInByte = 9416
; NumSgprs: 41
; NumVgprs: 118
; ScratchSize: 0
; MemoryBound: 1
; FloatMode: 240
; IeeeMode: 1
; LDSByteSize: 0 bytes/workgroup (compile time only)
; SGPRBlocks: 5
; VGPRBlocks: 14
; NumSGPRsForWavesPerEU: 41
; NumVGPRsForWavesPerEU: 118
; Occupancy: 12
; WaveLimiterHint : 1
; COMPUTE_PGM_RSRC2:SCRATCH_EN: 0
; COMPUTE_PGM_RSRC2:USER_SGPR: 2
; COMPUTE_PGM_RSRC2:TRAP_HANDLER: 0
; COMPUTE_PGM_RSRC2:TGID_X_EN: 1
; COMPUTE_PGM_RSRC2:TGID_Y_EN: 0
; COMPUTE_PGM_RSRC2:TGID_Z_EN: 0
; COMPUTE_PGM_RSRC2:TIDIG_COMP_CNT: 0
	.text
	.p2alignl 7, 3214868480
	.fill 96, 4, 3214868480
	.type	__hip_cuid_fc9fce8667a3dc0a,@object ; @__hip_cuid_fc9fce8667a3dc0a
	.section	.bss,"aw",@nobits
	.globl	__hip_cuid_fc9fce8667a3dc0a
__hip_cuid_fc9fce8667a3dc0a:
	.byte	0                               ; 0x0
	.size	__hip_cuid_fc9fce8667a3dc0a, 1

	.ident	"AMD clang version 19.0.0git (https://github.com/RadeonOpenCompute/llvm-project roc-6.4.0 25133 c7fe45cf4b819c5991fe208aaa96edf142730f1d)"
	.section	".note.GNU-stack","",@progbits
	.addrsig
	.addrsig_sym __hip_cuid_fc9fce8667a3dc0a
	.amdgpu_metadata
---
amdhsa.kernels:
  - .args:
      - .actual_access:  read_only
        .address_space:  global
        .offset:         0
        .size:           8
        .value_kind:     global_buffer
      - .offset:         8
        .size:           8
        .value_kind:     by_value
      - .actual_access:  read_only
        .address_space:  global
        .offset:         16
        .size:           8
        .value_kind:     global_buffer
      - .actual_access:  read_only
        .address_space:  global
        .offset:         24
        .size:           8
        .value_kind:     global_buffer
      - .actual_access:  read_only
        .address_space:  global
        .offset:         32
        .size:           8
        .value_kind:     global_buffer
      - .offset:         40
        .size:           8
        .value_kind:     by_value
      - .actual_access:  read_only
        .address_space:  global
        .offset:         48
        .size:           8
        .value_kind:     global_buffer
      - .actual_access:  read_only
        .address_space:  global
        .offset:         56
        .size:           8
        .value_kind:     global_buffer
      - .offset:         64
        .size:           4
        .value_kind:     by_value
      - .actual_access:  read_only
        .address_space:  global
        .offset:         72
        .size:           8
        .value_kind:     global_buffer
      - .actual_access:  read_only
        .address_space:  global
        .offset:         80
        .size:           8
        .value_kind:     global_buffer
      - .actual_access:  read_only
        .address_space:  global
        .offset:         88
        .size:           8
        .value_kind:     global_buffer
      - .actual_access:  write_only
        .address_space:  global
        .offset:         96
        .size:           8
        .value_kind:     global_buffer
    .group_segment_fixed_size: 0
    .kernarg_segment_align: 8
    .kernarg_segment_size: 104
    .language:       OpenCL C
    .language_version:
      - 2
      - 0
    .max_flat_workgroup_size: 135
    .name:           fft_rtc_back_len1350_factors_5_10_3_3_3_wgs_135_tpt_135_halfLds_dp_op_CI_CI_unitstride_sbrr_dirReg
    .private_segment_fixed_size: 0
    .sgpr_count:     41
    .sgpr_spill_count: 0
    .symbol:         fft_rtc_back_len1350_factors_5_10_3_3_3_wgs_135_tpt_135_halfLds_dp_op_CI_CI_unitstride_sbrr_dirReg.kd
    .uniform_work_group_size: 1
    .uses_dynamic_stack: false
    .vgpr_count:     118
    .vgpr_spill_count: 0
    .wavefront_size: 32
    .workgroup_processor_mode: 1
amdhsa.target:   amdgcn-amd-amdhsa--gfx1201
amdhsa.version:
  - 1
  - 2
...

	.end_amdgpu_metadata
